;; amdgpu-corpus repo=ROCm/rocFFT kind=compiled arch=gfx906 opt=O3
	.text
	.amdgcn_target "amdgcn-amd-amdhsa--gfx906"
	.amdhsa_code_object_version 6
	.protected	fft_rtc_back_len462_factors_11_6_7_wgs_231_tpt_77_sp_ip_CI_sbrr_dirReg ; -- Begin function fft_rtc_back_len462_factors_11_6_7_wgs_231_tpt_77_sp_ip_CI_sbrr_dirReg
	.globl	fft_rtc_back_len462_factors_11_6_7_wgs_231_tpt_77_sp_ip_CI_sbrr_dirReg
	.p2align	8
	.type	fft_rtc_back_len462_factors_11_6_7_wgs_231_tpt_77_sp_ip_CI_sbrr_dirReg,@function
fft_rtc_back_len462_factors_11_6_7_wgs_231_tpt_77_sp_ip_CI_sbrr_dirReg: ; @fft_rtc_back_len462_factors_11_6_7_wgs_231_tpt_77_sp_ip_CI_sbrr_dirReg
; %bb.0:
	s_load_dwordx2 s[14:15], s[4:5], 0x18
	s_load_dwordx4 s[8:11], s[4:5], 0x0
	s_load_dwordx2 s[12:13], s[4:5], 0x50
	v_mul_u32_u24_e32 v1, 0x354, v0
	v_lshrrev_b32_e32 v1, 16, v1
	s_waitcnt lgkmcnt(0)
	s_load_dwordx2 s[2:3], s[14:15], 0x0
	v_mad_u64_u32 v[1:2], s[0:1], s6, 3, v[1:2]
	v_mov_b32_e32 v5, 0
	v_cmp_lt_u64_e64 s[0:1], s[10:11], 2
	v_mov_b32_e32 v2, v5
	v_mov_b32_e32 v3, 0
	;; [unrolled: 1-line block ×3, first 2 shown]
	s_and_b64 vcc, exec, s[0:1]
	v_mov_b32_e32 v4, 0
	v_mov_b32_e32 v9, v1
	s_cbranch_vccnz .LBB0_8
; %bb.1:
	s_load_dwordx2 s[0:1], s[4:5], 0x10
	s_add_u32 s6, s14, 8
	s_addc_u32 s7, s15, 0
	v_mov_b32_e32 v3, 0
	v_mov_b32_e32 v8, v2
	s_waitcnt lgkmcnt(0)
	s_add_u32 s18, s0, 8
	s_mov_b64 s[16:17], 1
	v_mov_b32_e32 v4, 0
	s_addc_u32 s19, s1, 0
	v_mov_b32_e32 v7, v1
.LBB0_2:                                ; =>This Inner Loop Header: Depth=1
	s_load_dwordx2 s[20:21], s[18:19], 0x0
                                        ; implicit-def: $vgpr9_vgpr10
	s_waitcnt lgkmcnt(0)
	v_or_b32_e32 v6, s21, v8
	v_cmp_ne_u64_e32 vcc, 0, v[5:6]
	s_and_saveexec_b64 s[0:1], vcc
	s_xor_b64 s[22:23], exec, s[0:1]
	s_cbranch_execz .LBB0_4
; %bb.3:                                ;   in Loop: Header=BB0_2 Depth=1
	v_cvt_f32_u32_e32 v2, s20
	v_cvt_f32_u32_e32 v6, s21
	s_sub_u32 s0, 0, s20
	s_subb_u32 s1, 0, s21
	v_mac_f32_e32 v2, 0x4f800000, v6
	v_rcp_f32_e32 v2, v2
	v_mul_f32_e32 v2, 0x5f7ffffc, v2
	v_mul_f32_e32 v6, 0x2f800000, v2
	v_trunc_f32_e32 v6, v6
	v_mac_f32_e32 v2, 0xcf800000, v6
	v_cvt_u32_f32_e32 v6, v6
	v_cvt_u32_f32_e32 v2, v2
	v_mul_lo_u32 v9, s0, v6
	v_mul_hi_u32 v10, s0, v2
	v_mul_lo_u32 v12, s1, v2
	v_mul_lo_u32 v11, s0, v2
	v_add_u32_e32 v9, v10, v9
	v_add_u32_e32 v9, v9, v12
	v_mul_hi_u32 v10, v2, v11
	v_mul_lo_u32 v12, v2, v9
	v_mul_hi_u32 v14, v2, v9
	v_mul_hi_u32 v13, v6, v11
	v_mul_lo_u32 v11, v6, v11
	v_mul_hi_u32 v15, v6, v9
	v_add_co_u32_e32 v10, vcc, v10, v12
	v_addc_co_u32_e32 v12, vcc, 0, v14, vcc
	v_mul_lo_u32 v9, v6, v9
	v_add_co_u32_e32 v10, vcc, v10, v11
	v_addc_co_u32_e32 v10, vcc, v12, v13, vcc
	v_addc_co_u32_e32 v11, vcc, 0, v15, vcc
	v_add_co_u32_e32 v9, vcc, v10, v9
	v_addc_co_u32_e32 v10, vcc, 0, v11, vcc
	v_add_co_u32_e32 v2, vcc, v2, v9
	v_addc_co_u32_e32 v6, vcc, v6, v10, vcc
	v_mul_lo_u32 v9, s0, v6
	v_mul_hi_u32 v10, s0, v2
	v_mul_lo_u32 v11, s1, v2
	v_mul_lo_u32 v12, s0, v2
	v_add_u32_e32 v9, v10, v9
	v_add_u32_e32 v9, v9, v11
	v_mul_lo_u32 v13, v2, v9
	v_mul_hi_u32 v14, v2, v12
	v_mul_hi_u32 v15, v2, v9
	;; [unrolled: 1-line block ×3, first 2 shown]
	v_mul_lo_u32 v12, v6, v12
	v_mul_hi_u32 v10, v6, v9
	v_add_co_u32_e32 v13, vcc, v14, v13
	v_addc_co_u32_e32 v14, vcc, 0, v15, vcc
	v_mul_lo_u32 v9, v6, v9
	v_add_co_u32_e32 v12, vcc, v13, v12
	v_addc_co_u32_e32 v11, vcc, v14, v11, vcc
	v_addc_co_u32_e32 v10, vcc, 0, v10, vcc
	v_add_co_u32_e32 v9, vcc, v11, v9
	v_addc_co_u32_e32 v10, vcc, 0, v10, vcc
	v_add_co_u32_e32 v2, vcc, v2, v9
	v_addc_co_u32_e32 v6, vcc, v6, v10, vcc
	v_mad_u64_u32 v[9:10], s[0:1], v7, v6, 0
	v_mul_hi_u32 v11, v7, v2
	v_add_co_u32_e32 v13, vcc, v11, v9
	v_addc_co_u32_e32 v14, vcc, 0, v10, vcc
	v_mad_u64_u32 v[9:10], s[0:1], v8, v2, 0
	v_mad_u64_u32 v[11:12], s[0:1], v8, v6, 0
	v_add_co_u32_e32 v2, vcc, v13, v9
	v_addc_co_u32_e32 v2, vcc, v14, v10, vcc
	v_addc_co_u32_e32 v6, vcc, 0, v12, vcc
	v_add_co_u32_e32 v2, vcc, v2, v11
	v_addc_co_u32_e32 v6, vcc, 0, v6, vcc
	v_mul_lo_u32 v11, s21, v2
	v_mul_lo_u32 v12, s20, v6
	v_mad_u64_u32 v[9:10], s[0:1], s20, v2, 0
	v_add3_u32 v10, v10, v12, v11
	v_sub_u32_e32 v11, v8, v10
	v_mov_b32_e32 v12, s21
	v_sub_co_u32_e32 v9, vcc, v7, v9
	v_subb_co_u32_e64 v11, s[0:1], v11, v12, vcc
	v_subrev_co_u32_e64 v12, s[0:1], s20, v9
	v_subbrev_co_u32_e64 v11, s[0:1], 0, v11, s[0:1]
	v_cmp_le_u32_e64 s[0:1], s21, v11
	v_cndmask_b32_e64 v13, 0, -1, s[0:1]
	v_cmp_le_u32_e64 s[0:1], s20, v12
	v_cndmask_b32_e64 v12, 0, -1, s[0:1]
	v_cmp_eq_u32_e64 s[0:1], s21, v11
	v_cndmask_b32_e64 v11, v13, v12, s[0:1]
	v_add_co_u32_e64 v12, s[0:1], 2, v2
	v_addc_co_u32_e64 v13, s[0:1], 0, v6, s[0:1]
	v_add_co_u32_e64 v14, s[0:1], 1, v2
	v_addc_co_u32_e64 v15, s[0:1], 0, v6, s[0:1]
	v_subb_co_u32_e32 v10, vcc, v8, v10, vcc
	v_cmp_ne_u32_e64 s[0:1], 0, v11
	v_cmp_le_u32_e32 vcc, s21, v10
	v_cndmask_b32_e64 v11, v15, v13, s[0:1]
	v_cndmask_b32_e64 v13, 0, -1, vcc
	v_cmp_le_u32_e32 vcc, s20, v9
	v_cndmask_b32_e64 v9, 0, -1, vcc
	v_cmp_eq_u32_e32 vcc, s21, v10
	v_cndmask_b32_e32 v9, v13, v9, vcc
	v_cmp_ne_u32_e32 vcc, 0, v9
	v_cndmask_b32_e32 v10, v6, v11, vcc
	v_cndmask_b32_e64 v6, v14, v12, s[0:1]
	v_cndmask_b32_e32 v9, v2, v6, vcc
.LBB0_4:                                ;   in Loop: Header=BB0_2 Depth=1
	s_andn2_saveexec_b64 s[0:1], s[22:23]
	s_cbranch_execz .LBB0_6
; %bb.5:                                ;   in Loop: Header=BB0_2 Depth=1
	v_cvt_f32_u32_e32 v2, s20
	s_sub_i32 s22, 0, s20
	v_rcp_iflag_f32_e32 v2, v2
	v_mul_f32_e32 v2, 0x4f7ffffe, v2
	v_cvt_u32_f32_e32 v2, v2
	v_mul_lo_u32 v6, s22, v2
	v_mul_hi_u32 v6, v2, v6
	v_add_u32_e32 v2, v2, v6
	v_mul_hi_u32 v2, v7, v2
	v_mul_lo_u32 v6, v2, s20
	v_add_u32_e32 v9, 1, v2
	v_sub_u32_e32 v6, v7, v6
	v_subrev_u32_e32 v10, s20, v6
	v_cmp_le_u32_e32 vcc, s20, v6
	v_cndmask_b32_e32 v6, v6, v10, vcc
	v_cndmask_b32_e32 v2, v2, v9, vcc
	v_add_u32_e32 v9, 1, v2
	v_cmp_le_u32_e32 vcc, s20, v6
	v_cndmask_b32_e32 v9, v2, v9, vcc
	v_mov_b32_e32 v10, v5
.LBB0_6:                                ;   in Loop: Header=BB0_2 Depth=1
	s_or_b64 exec, exec, s[0:1]
	v_mul_lo_u32 v2, v10, s20
	v_mul_lo_u32 v6, v9, s21
	v_mad_u64_u32 v[11:12], s[0:1], v9, s20, 0
	s_load_dwordx2 s[0:1], s[6:7], 0x0
	s_add_u32 s16, s16, 1
	v_add3_u32 v2, v12, v6, v2
	v_sub_co_u32_e32 v6, vcc, v7, v11
	v_subb_co_u32_e32 v2, vcc, v8, v2, vcc
	s_waitcnt lgkmcnt(0)
	v_mul_lo_u32 v2, s0, v2
	v_mul_lo_u32 v7, s1, v6
	v_mad_u64_u32 v[3:4], s[0:1], s0, v6, v[3:4]
	s_addc_u32 s17, s17, 0
	s_add_u32 s6, s6, 8
	v_add3_u32 v4, v7, v4, v2
	v_mov_b32_e32 v6, s10
	v_mov_b32_e32 v7, s11
	s_addc_u32 s7, s7, 0
	v_cmp_ge_u64_e32 vcc, s[16:17], v[6:7]
	s_add_u32 s18, s18, 8
	s_addc_u32 s19, s19, 0
	s_cbranch_vccnz .LBB0_8
; %bb.7:                                ;   in Loop: Header=BB0_2 Depth=1
	v_mov_b32_e32 v7, v9
	v_mov_b32_e32 v8, v10
	s_branch .LBB0_2
.LBB0_8:
	s_lshl_b64 s[0:1], s[10:11], 3
	s_add_u32 s0, s14, s0
	s_addc_u32 s1, s15, s1
	s_load_dwordx2 s[0:1], s[0:1], 0x0
	s_mov_b32 s6, 0xaaaaaaab
	v_mul_hi_u32 v5, v1, s6
	s_waitcnt lgkmcnt(0)
	v_mul_lo_u32 v6, s0, v10
	v_mul_lo_u32 v7, s1, v9
	v_mad_u64_u32 v[2:3], s[0:1], s0, v9, v[3:4]
	s_load_dwordx2 s[0:1], s[4:5], 0x20
	s_mov_b32 s4, 0x3531ded
	v_lshrrev_b32_e32 v4, 1, v5
	v_mul_hi_u32 v5, v0, s4
	v_lshl_add_u32 v4, v4, 1, v4
	v_add3_u32 v3, v7, v3, v6
	v_sub_u32_e32 v1, v1, v4
	v_mul_u32_u24_e32 v4, 0x4d, v5
	v_mul_u32_u24_e32 v1, 0x1ce, v1
	s_waitcnt lgkmcnt(0)
	v_cmp_gt_u64_e32 vcc, s[0:1], v[9:10]
	v_sub_u32_e32 v28, v0, v4
	v_lshlrev_b64 v[20:21], 3, v[2:3]
	v_lshlrev_b32_e32 v31, 3, v1
	v_lshlrev_b32_e32 v4, 3, v28
	s_and_saveexec_b64 s[4:5], vcc
	s_cbranch_execz .LBB0_10
; %bb.9:
	v_mad_u64_u32 v[0:1], s[0:1], s2, v28, 0
	v_add_u32_e32 v6, 0x4d, v28
	v_mov_b32_e32 v5, s13
	v_mad_u64_u32 v[1:2], s[0:1], s3, v28, v[1:2]
	v_mad_u64_u32 v[2:3], s[0:1], s2, v6, 0
	v_add_co_u32_e64 v24, s[0:1], s12, v20
	v_addc_co_u32_e64 v25, s[0:1], v5, v21, s[0:1]
	v_mad_u64_u32 v[5:6], s[0:1], s3, v6, v[3:4]
	v_add_u32_e32 v8, 0x9a, v28
	v_mad_u64_u32 v[6:7], s[0:1], s2, v8, 0
	v_lshlrev_b64 v[0:1], 3, v[0:1]
	v_mov_b32_e32 v3, v5
	v_add_co_u32_e64 v0, s[0:1], v24, v0
	v_mov_b32_e32 v5, v7
	v_addc_co_u32_e64 v1, s[0:1], v25, v1, s[0:1]
	v_mad_u64_u32 v[7:8], s[0:1], s3, v8, v[5:6]
	v_add_u32_e32 v10, 0xe7, v28
	v_mad_u64_u32 v[8:9], s[0:1], s2, v10, 0
	v_lshlrev_b64 v[2:3], 3, v[2:3]
	v_lshlrev_b64 v[5:6], 3, v[6:7]
	v_add_co_u32_e64 v2, s[0:1], v24, v2
	v_mov_b32_e32 v7, v9
	v_addc_co_u32_e64 v3, s[0:1], v25, v3, s[0:1]
	v_mad_u64_u32 v[9:10], s[0:1], s3, v10, v[7:8]
	v_add_u32_e32 v12, 0x134, v28
	v_mad_u64_u32 v[10:11], s[0:1], s2, v12, 0
	v_add_co_u32_e64 v5, s[0:1], v24, v5
	v_lshlrev_b64 v[7:8], 3, v[8:9]
	v_mov_b32_e32 v9, v11
	v_addc_co_u32_e64 v6, s[0:1], v25, v6, s[0:1]
	v_mad_u64_u32 v[11:12], s[0:1], s3, v12, v[9:10]
	v_add_u32_e32 v14, 0x181, v28
	v_mad_u64_u32 v[12:13], s[0:1], s2, v14, 0
	v_add_co_u32_e64 v7, s[0:1], v24, v7
	v_lshlrev_b64 v[9:10], 3, v[10:11]
	v_mov_b32_e32 v11, v13
	v_addc_co_u32_e64 v8, s[0:1], v25, v8, s[0:1]
	v_mad_u64_u32 v[13:14], s[0:1], s3, v14, v[11:12]
	v_add_co_u32_e64 v9, s[0:1], v24, v9
	global_load_dwordx2 v[14:15], v[0:1], off
	global_load_dwordx2 v[16:17], v[2:3], off
	;; [unrolled: 1-line block ×4, first 2 shown]
	v_lshlrev_b64 v[0:1], 3, v[12:13]
	v_addc_co_u32_e64 v10, s[0:1], v25, v10, s[0:1]
	v_add_co_u32_e64 v0, s[0:1], v24, v0
	v_addc_co_u32_e64 v1, s[0:1], v25, v1, s[0:1]
	global_load_dwordx2 v[2:3], v[9:10], off
	global_load_dwordx2 v[5:6], v[0:1], off
	v_add3_u32 v0, 0, v31, v4
	v_add_u32_e32 v1, 0x800, v0
	s_waitcnt vmcnt(4)
	ds_write2_b64 v0, v[14:15], v[16:17] offset1:77
	s_waitcnt vmcnt(2)
	ds_write2_b64 v0, v[18:19], v[22:23] offset0:154 offset1:231
	s_waitcnt vmcnt(0)
	ds_write2_b64 v1, v[2:3], v[5:6] offset0:52 offset1:129
.LBB0_10:
	s_or_b64 exec, exec, s[4:5]
	v_add_u32_e32 v32, 0, v4
	v_add_u32_e32 v30, v32, v31
	;; [unrolled: 1-line block ×3, first 2 shown]
	s_waitcnt lgkmcnt(0)
	s_barrier
	ds_read2_b64 v[8:11], v30 offset0:42 offset1:84
	ds_read2_b64 v[0:3], v5 offset0:122 offset1:164
	v_add3_u32 v29, 0, v31, v4
	ds_read_b64 v[24:25], v29
	s_mov_b32 s6, 0xbf75a155
	s_mov_b32 s7, 0x3f575c64
	s_waitcnt lgkmcnt(1)
	v_sub_f32_e32 v43, v9, v3
	v_add_f32_e32 v33, v2, v8
	v_mul_f32_e32 v26, 0xbe903f40, v43
	v_sub_f32_e32 v44, v11, v1
	v_fma_f32 v4, v33, s6, -v26
	v_add_f32_e32 v34, v0, v10
	v_mul_f32_e32 v27, 0x3f0a6770, v44
	v_add_f32_e32 v45, v3, v9
	s_waitcnt lgkmcnt(0)
	v_add_f32_e32 v4, v24, v4
	v_fma_f32 v6, v34, s7, -v27
	v_mul_f32_e32 v54, 0xbf75a155, v45
	v_add_f32_e32 v16, v6, v4
	v_sub_f32_e32 v35, v8, v2
	v_mov_b32_e32 v4, v54
	v_fmac_f32_e32 v4, 0xbe903f40, v35
	v_add_f32_e32 v17, v25, v4
	ds_read2_b64 v[4:7], v5 offset0:38 offset1:80
	ds_read2_b64 v[12:15], v30 offset0:126 offset1:168
	v_add_f32_e32 v47, v1, v11
	v_mul_f32_e32 v55, 0x3f575c64, v47
	v_sub_f32_e32 v36, v10, v0
	v_mov_b32_e32 v18, v55
	s_waitcnt lgkmcnt(0)
	v_sub_f32_e32 v46, v13, v7
	v_fmac_f32_e32 v18, 0x3f0a6770, v36
	s_mov_b32 s10, 0xbf27a4f4
	v_add_f32_e32 v37, v6, v12
	v_mul_f32_e32 v53, 0xbf4178ce, v46
	v_add_f32_e32 v49, v7, v13
	v_add_f32_e32 v17, v18, v17
	v_fma_f32 v18, v37, s10, -v53
	v_mul_f32_e32 v57, 0xbf27a4f4, v49
	v_add_f32_e32 v16, v18, v16
	v_sub_f32_e32 v39, v12, v6
	v_mov_b32_e32 v18, v57
	v_sub_f32_e32 v48, v15, v5
	v_fmac_f32_e32 v18, 0xbf4178ce, v39
	s_mov_b32 s11, 0x3ed4b147
	v_add_f32_e32 v38, v4, v14
	v_mul_f32_e32 v56, 0x3f68dda4, v48
	v_add_f32_e32 v22, v18, v17
	v_fma_f32 v17, v38, s11, -v56
	v_add_f32_e32 v23, v17, v16
	ds_read2_b64 v[16:19], v30 offset0:210 offset1:252
	v_add_f32_e32 v51, v5, v15
	v_mul_f32_e32 v59, 0x3ed4b147, v51
	v_sub_f32_e32 v40, v14, v4
	v_mov_b32_e32 v41, v59
	v_fmac_f32_e32 v41, 0x3f68dda4, v40
	s_waitcnt lgkmcnt(0)
	v_sub_f32_e32 v50, v17, v19
	v_add_f32_e32 v61, v41, v22
	s_mov_b32 s14, 0xbe11bafb
	v_add_f32_e32 v41, v18, v16
	v_mul_f32_e32 v58, 0xbf7d64f0, v50
	v_add_f32_e32 v52, v19, v17
	v_fma_f32 v22, v41, s14, -v58
	v_mul_f32_e32 v60, 0xbe11bafb, v52
	v_add_f32_e32 v22, v22, v23
	v_sub_f32_e32 v42, v16, v18
	v_mov_b32_e32 v23, v60
	v_fmac_f32_e32 v23, 0xbf7d64f0, v42
	v_add_f32_e32 v23, v23, v61
	v_cmp_gt_u32_e64 s[0:1], 42, v28
	s_barrier
	s_and_saveexec_b64 s[4:5], s[0:1]
	s_cbranch_execz .LBB0_12
; %bb.11:
	v_mul_f32_e32 v61, 0xbe903f40, v35
	v_sub_f32_e32 v54, v54, v61
	v_mul_f32_e32 v61, 0x3f0a6770, v36
	v_sub_f32_e32 v55, v55, v61
	v_add_f32_e32 v54, v25, v54
	v_add_f32_e32 v54, v55, v54
	v_mul_f32_e32 v55, 0xbf4178ce, v39
	v_sub_f32_e32 v55, v57, v55
	v_mul_f32_e32 v57, 0xbf75a155, v33
	v_add_f32_e32 v26, v57, v26
	v_mul_f32_e32 v57, 0x3f575c64, v34
	v_add_f32_e32 v27, v57, v27
	v_add_f32_e32 v26, v24, v26
	;; [unrolled: 1-line block ×3, first 2 shown]
	v_mul_f32_e32 v27, 0xbf27a4f4, v37
	v_add_f32_e32 v27, v27, v53
	v_add_f32_e32 v54, v55, v54
	v_mul_f32_e32 v55, 0x3f68dda4, v40
	v_add_f32_e32 v26, v27, v26
	v_mul_f32_e32 v27, 0x3ed4b147, v38
	v_sub_f32_e32 v55, v59, v55
	v_add_f32_e32 v53, v27, v56
	v_mul_f32_e32 v56, 0xbe11bafb, v41
	v_add_f32_e32 v54, v55, v54
	v_mul_f32_e32 v55, 0xbf7d64f0, v42
	v_add_f32_e32 v26, v53, v26
	v_add_f32_e32 v53, v56, v58
	v_sub_f32_e32 v55, v60, v55
	v_add_f32_e32 v26, v53, v26
	v_mul_f32_e32 v53, 0xbf27a4f4, v45
	v_add_f32_e32 v8, v24, v8
	v_add_f32_e32 v27, v55, v54
	v_mov_b32_e32 v54, v53
	v_add_f32_e32 v9, v25, v9
	v_add_f32_e32 v8, v8, v10
	v_mul_f32_e32 v10, 0xbe11bafb, v47
	v_fmac_f32_e32 v54, 0x3f4178ce, v35
	v_add_f32_e32 v9, v9, v11
	v_mov_b32_e32 v11, v10
	v_add_f32_e32 v54, v25, v54
	v_fmac_f32_e32 v11, 0xbf7d64f0, v36
	v_add_f32_e32 v11, v11, v54
	v_mul_f32_e32 v54, 0x3f575c64, v49
	v_mov_b32_e32 v55, v54
	v_fmac_f32_e32 v55, 0x3f0a6770, v39
	v_add_f32_e32 v11, v55, v11
	v_mul_f32_e32 v55, 0xbf75a155, v51
	v_add_f32_e32 v9, v9, v13
	v_add_f32_e32 v8, v8, v12
	v_mul_f32_e32 v12, 0xbf4178ce, v43
	v_mov_b32_e32 v56, v55
	v_add_f32_e32 v13, v9, v15
	v_add_f32_e32 v8, v8, v14
	v_mov_b32_e32 v9, v12
	v_mul_f32_e32 v14, 0x3f7d64f0, v44
	v_fmac_f32_e32 v56, 0x3e903f40, v40
	v_fmac_f32_e32 v9, 0xbf27a4f4, v33
	v_mov_b32_e32 v15, v14
	v_add_f32_e32 v11, v56, v11
	v_mul_f32_e32 v56, 0x3ed4b147, v52
	v_add_f32_e32 v9, v24, v9
	v_fmac_f32_e32 v15, 0xbe11bafb, v34
	v_add_f32_e32 v15, v15, v9
	v_mov_b32_e32 v9, v56
	v_fmac_f32_e32 v9, 0xbf68dda4, v42
	v_add_f32_e32 v8, v8, v16
	v_add_f32_e32 v9, v9, v11
	;; [unrolled: 1-line block ×5, first 2 shown]
	v_mul_f32_e32 v16, 0xbf0a6770, v46
	v_add_f32_e32 v4, v13, v4
	v_mov_b32_e32 v8, v16
	v_add_f32_e32 v5, v11, v5
	v_add_f32_e32 v4, v4, v6
	v_fmac_f32_e32 v8, 0x3f575c64, v37
	v_add_f32_e32 v5, v5, v7
	v_add_f32_e32 v0, v4, v0
	v_mul_f32_e32 v58, 0xbf7d64f0, v43
	v_add_f32_e32 v8, v8, v15
	v_mul_f32_e32 v15, 0xbe903f40, v48
	v_add_f32_e32 v1, v5, v1
	v_add_f32_e32 v0, v0, v2
	v_mov_b32_e32 v2, v58
	v_mul_f32_e32 v59, 0x3e903f40, v44
	v_mov_b32_e32 v17, v15
	v_add_f32_e32 v1, v1, v3
	v_fmac_f32_e32 v2, 0xbe11bafb, v33
	v_mov_b32_e32 v3, v59
	v_fmac_f32_e32 v17, 0xbf75a155, v38
	v_add_f32_e32 v2, v24, v2
	v_fmac_f32_e32 v3, 0xbf75a155, v34
	v_mul_f32_e32 v60, 0x3f68dda4, v46
	v_add_f32_e32 v8, v17, v8
	v_mul_f32_e32 v17, 0x3f68dda4, v50
	v_add_f32_e32 v2, v3, v2
	v_mov_b32_e32 v3, v60
	v_mov_b32_e32 v18, v17
	v_fmac_f32_e32 v3, 0x3ed4b147, v37
	v_mul_f32_e32 v61, 0xbf0a6770, v48
	v_fmac_f32_e32 v18, 0x3ed4b147, v41
	v_add_f32_e32 v2, v3, v2
	v_mov_b32_e32 v3, v61
	v_mul_f32_e32 v63, 0xbf4178ce, v50
	v_add_f32_e32 v8, v18, v8
	v_mul_f32_e32 v18, 0xbe11bafb, v45
	v_fmac_f32_e32 v3, 0x3f575c64, v38
	v_mov_b32_e32 v4, v63
	v_mov_b32_e32 v19, v18
	v_mul_f32_e32 v13, 0xbf75a155, v47
	v_add_f32_e32 v2, v3, v2
	v_fmac_f32_e32 v4, 0xbf27a4f4, v41
	v_mul_f32_e32 v64, 0x3ed4b147, v45
	v_fmac_f32_e32 v19, 0x3f7d64f0, v35
	v_mov_b32_e32 v6, v13
	v_add_f32_e32 v2, v4, v2
	v_mov_b32_e32 v4, v64
	v_mul_f32_e32 v65, 0xbf27a4f4, v47
	v_add_f32_e32 v19, v25, v19
	v_fmac_f32_e32 v6, 0xbe903f40, v36
	v_fmac_f32_e32 v4, 0x3f68dda4, v35
	v_mov_b32_e32 v5, v65
	v_add_f32_e32 v6, v6, v19
	v_mul_f32_e32 v19, 0x3ed4b147, v49
	v_add_f32_e32 v4, v25, v4
	v_fmac_f32_e32 v5, 0x3f4178ce, v36
	v_mul_f32_e32 v66, 0xbf75a155, v49
	v_mov_b32_e32 v7, v19
	v_add_f32_e32 v4, v5, v4
	v_mov_b32_e32 v5, v66
	v_fmac_f32_e32 v7, 0xbf68dda4, v39
	v_mul_f32_e32 v57, 0x3f575c64, v51
	v_fmac_f32_e32 v5, 0xbe903f40, v39
	v_mul_f32_e32 v67, 0xbe11bafb, v51
	v_add_f32_e32 v6, v7, v6
	v_mov_b32_e32 v7, v57
	v_mul_f32_e32 v62, 0xbf27a4f4, v52
	v_add_f32_e32 v4, v5, v4
	v_mov_b32_e32 v5, v67
	v_fmac_f32_e32 v7, 0x3f0a6770, v40
	v_mov_b32_e32 v3, v62
	v_fmac_f32_e32 v5, 0xbf7d64f0, v40
	v_mul_f32_e32 v68, 0xbf68dda4, v43
	v_add_f32_e32 v6, v7, v6
	v_fmac_f32_e32 v3, 0x3f4178ce, v42
	v_add_f32_e32 v4, v5, v4
	v_mov_b32_e32 v5, v68
	v_mul_f32_e32 v69, 0xbf4178ce, v44
	v_add_f32_e32 v3, v3, v6
	v_fmac_f32_e32 v5, 0x3ed4b147, v33
	v_mov_b32_e32 v6, v69
	v_add_f32_e32 v5, v24, v5
	v_fmac_f32_e32 v6, 0xbf27a4f4, v34
	v_mul_f32_e32 v70, 0x3e903f40, v46
	v_add_f32_e32 v5, v6, v5
	v_mov_b32_e32 v6, v70
	v_fmac_f32_e32 v6, 0xbf75a155, v37
	v_mul_f32_e32 v71, 0x3f7d64f0, v48
	v_add_f32_e32 v5, v6, v5
	v_mov_b32_e32 v6, v71
	;; [unrolled: 4-line block ×5, first 2 shown]
	v_mul_f32_e32 v47, 0x3ed4b147, v47
	v_fmac_f32_e32 v6, 0x3f0a6770, v35
	v_mov_b32_e32 v7, v47
	v_add_f32_e32 v6, v25, v6
	v_fmac_f32_e32 v7, 0x3f68dda4, v36
	v_mul_f32_e32 v49, 0xbe11bafb, v49
	v_add_f32_e32 v6, v7, v6
	v_mov_b32_e32 v7, v49
	v_fmac_f32_e32 v7, 0x3f7d64f0, v39
	v_mul_f32_e32 v51, 0xbf27a4f4, v51
	v_add_f32_e32 v6, v7, v6
	v_mov_b32_e32 v7, v51
	;; [unrolled: 4-line block ×3, first 2 shown]
	v_mul_f32_e32 v44, 0xbf68dda4, v44
	v_fmac_f32_e32 v7, 0x3f575c64, v33
	v_mov_b32_e32 v11, v44
	v_add_f32_e32 v7, v24, v7
	v_fmac_f32_e32 v11, 0x3ed4b147, v34
	v_mul_f32_e32 v46, 0xbf7d64f0, v46
	v_add_f32_e32 v7, v11, v7
	v_mov_b32_e32 v11, v46
	v_fmac_f32_e32 v11, 0xbe11bafb, v37
	v_mul_f32_e32 v48, 0xbf4178ce, v48
	v_add_f32_e32 v7, v11, v7
	v_mov_b32_e32 v11, v48
	;; [unrolled: 4-line block ×4, first 2 shown]
	v_fmac_f32_e32 v6, 0xbf75a155, v41
	v_fmac_f32_e32 v53, 0xbf4178ce, v35
	v_add_f32_e32 v6, v6, v11
	v_add_f32_e32 v11, v25, v53
	v_fmac_f32_e32 v10, 0x3f7d64f0, v36
	v_add_f32_e32 v10, v10, v11
	v_fma_f32 v11, v33, s10, -v12
	v_fmac_f32_e32 v54, 0xbf0a6770, v39
	v_add_f32_e32 v11, v24, v11
	v_fma_f32 v12, v34, s14, -v14
	v_add_f32_e32 v10, v54, v10
	v_fmac_f32_e32 v55, 0xbe903f40, v40
	v_add_f32_e32 v11, v12, v11
	v_fma_f32 v12, v37, s7, -v16
	v_add_f32_e32 v10, v55, v10
	v_add_f32_e32 v11, v12, v11
	v_fma_f32 v12, v38, s6, -v15
	v_fmac_f32_e32 v56, 0x3f68dda4, v42
	v_add_f32_e32 v12, v12, v11
	v_add_f32_e32 v11, v56, v10
	v_fma_f32 v10, v41, s11, -v17
	v_fmac_f32_e32 v18, 0xbf7d64f0, v35
	v_add_f32_e32 v10, v10, v12
	v_add_f32_e32 v12, v25, v18
	v_fmac_f32_e32 v13, 0x3e903f40, v36
	v_add_f32_e32 v12, v13, v12
	v_fma_f32 v13, v33, s14, -v58
	v_fmac_f32_e32 v19, 0x3f68dda4, v39
	v_add_f32_e32 v13, v24, v13
	v_fma_f32 v14, v34, s6, -v59
	v_add_f32_e32 v12, v19, v12
	v_fmac_f32_e32 v57, 0xbf0a6770, v40
	v_add_f32_e32 v13, v14, v13
	v_fma_f32 v14, v37, s11, -v60
	v_add_f32_e32 v12, v57, v12
	v_add_f32_e32 v13, v14, v13
	v_fma_f32 v14, v38, s7, -v61
	v_fmac_f32_e32 v62, 0xbf4178ce, v42
	v_add_f32_e32 v14, v14, v13
	v_add_f32_e32 v13, v62, v12
	v_fma_f32 v12, v41, s10, -v63
	v_fmac_f32_e32 v64, 0xbf68dda4, v35
	v_add_f32_e32 v12, v12, v14
	v_add_f32_e32 v14, v25, v64
	v_fmac_f32_e32 v65, 0xbf4178ce, v36
	v_add_f32_e32 v14, v65, v14
	v_fmac_f32_e32 v66, 0x3e903f40, v39
	;; [unrolled: 2-line block ×4, first 2 shown]
	v_add_f32_e32 v15, v72, v14
	v_fma_f32 v14, v33, s11, -v68
	v_add_f32_e32 v14, v24, v14
	v_fma_f32 v16, v34, s10, -v69
	;; [unrolled: 2-line block ×5, first 2 shown]
	v_fmac_f32_e32 v45, 0xbf0a6770, v35
	v_add_f32_e32 v14, v16, v14
	v_add_f32_e32 v16, v25, v45
	v_fmac_f32_e32 v47, 0xbf68dda4, v36
	v_add_f32_e32 v16, v47, v16
	v_fmac_f32_e32 v49, 0xbf7d64f0, v39
	v_add_f32_e32 v16, v49, v16
	v_fmac_f32_e32 v51, 0xbf4178ce, v40
	v_add_f32_e32 v16, v51, v16
	v_fmac_f32_e32 v52, 0xbe903f40, v42
	v_add_f32_e32 v17, v52, v16
	v_fma_f32 v16, v33, s7, -v43
	v_add_f32_e32 v16, v24, v16
	v_fma_f32 v18, v34, s11, -v44
	;; [unrolled: 2-line block ×5, first 2 shown]
	v_add_f32_e32 v16, v18, v16
	v_mul_u32_u24_e32 v18, 0x50, v28
	v_add3_u32 v18, v32, v18, v31
	ds_write2_b64 v18, v[0:1], v[6:7] offset1:1
	ds_write2_b64 v18, v[4:5], v[2:3] offset0:2 offset1:3
	ds_write2_b64 v18, v[8:9], v[26:27] offset0:4 offset1:5
	;; [unrolled: 1-line block ×4, first 2 shown]
	ds_write_b64 v18, v[16:17] offset:80
.LBB0_12:
	s_or_b64 exec, exec, s[4:5]
	s_movk_i32 s0, 0x75
	v_mul_lo_u16_sdwa v0, v28, s0 dst_sel:DWORD dst_unused:UNUSED_PAD src0_sel:BYTE_0 src1_sel:DWORD
	v_sub_u16_sdwa v1, v28, v0 dst_sel:DWORD dst_unused:UNUSED_PAD src0_sel:DWORD src1_sel:BYTE_1
	v_lshrrev_b16_e32 v1, 1, v1
	v_and_b32_e32 v1, 0x7f, v1
	v_add_u16_sdwa v0, v1, v0 dst_sel:DWORD dst_unused:UNUSED_PAD src0_sel:DWORD src1_sel:BYTE_1
	v_lshrrev_b16_e32 v19, 3, v0
	v_mul_lo_u16_e32 v0, 11, v19
	v_sub_u16_e32 v32, v28, v0
	v_mov_b32_e32 v0, 5
	v_mul_u32_u24_sdwa v0, v32, v0 dst_sel:DWORD dst_unused:UNUSED_PAD src0_sel:BYTE_0 src1_sel:DWORD
	v_lshlrev_b32_e32 v8, 3, v0
	s_waitcnt lgkmcnt(0)
	s_barrier
	global_load_dwordx4 v[0:3], v8, s[8:9]
	global_load_dwordx4 v[4:7], v8, s[8:9] offset:16
	global_load_dwordx2 v[12:13], v8, s[8:9] offset:32
	v_add_u32_e32 v14, 0x400, v30
	ds_read2_b64 v[8:11], v30 offset0:77 offset1:154
	ds_read_b64 v[24:25], v29
	ds_read_b64 v[26:27], v30 offset:3080
	ds_read2_b64 v[15:18], v14 offset0:103 offset1:180
	s_movk_i32 s0, 0x210
	v_mad_u32_u24 v19, v19, s0, 0
	s_movk_i32 s0, 0x42
	v_cmp_gt_u32_e64 s[0:1], s0, v28
	s_waitcnt vmcnt(0) lgkmcnt(0)
	s_barrier
	v_mul_f32_e32 v33, v1, v9
	v_mul_f32_e32 v1, v1, v8
	;; [unrolled: 1-line block ×8, first 2 shown]
	v_fmac_f32_e32 v33, v0, v8
	v_fma_f32 v8, v0, v9, -v1
	v_fma_f32 v0, v2, v11, -v3
	;; [unrolled: 1-line block ×4, first 2 shown]
	v_mul_f32_e32 v36, v7, v18
	v_fmac_f32_e32 v35, v4, v15
	v_fmac_f32_e32 v37, v12, v26
	v_sub_f32_e32 v15, v1, v3
	v_add_f32_e32 v12, v8, v1
	v_add_f32_e32 v1, v1, v3
	v_mul_f32_e32 v7, v7, v17
	v_fmac_f32_e32 v34, v2, v10
	v_fmac_f32_e32 v36, v6, v17
	v_add_f32_e32 v11, v35, v37
	v_fmac_f32_e32 v8, -0.5, v1
	v_fma_f32 v2, v6, v18, -v7
	v_add_f32_e32 v5, v34, v36
	v_add_f32_e32 v7, v25, v0
	;; [unrolled: 1-line block ×3, first 2 shown]
	v_sub_f32_e32 v16, v35, v37
	v_fmac_f32_e32 v33, -0.5, v11
	v_mov_b32_e32 v17, v8
	v_sub_f32_e32 v6, v0, v2
	v_add_f32_e32 v0, v0, v2
	v_fma_f32 v5, -0.5, v5, v24
	v_add_f32_e32 v2, v7, v2
	v_add_f32_e32 v3, v12, v3
	v_mov_b32_e32 v7, v33
	v_fmac_f32_e32 v8, 0xbf5db3d7, v16
	v_fmac_f32_e32 v17, 0x3f5db3d7, v16
	v_add_f32_e32 v4, v24, v34
	v_fmac_f32_e32 v25, -0.5, v0
	v_add_f32_e32 v0, v10, v37
	v_mov_b32_e32 v10, v5
	v_fmac_f32_e32 v33, 0x3f5db3d7, v15
	v_add_f32_e32 v13, v2, v3
	v_sub_f32_e32 v1, v2, v3
	v_fmac_f32_e32 v7, 0xbf5db3d7, v15
	v_mul_f32_e32 v2, 0xbf5db3d7, v8
	v_mul_f32_e32 v15, 0xbf5db3d7, v17
	v_add_f32_e32 v4, v4, v36
	v_fmac_f32_e32 v5, 0x3f5db3d7, v6
	v_fmac_f32_e32 v10, 0xbf5db3d7, v6
	v_fmac_f32_e32 v2, -0.5, v33
	v_fmac_f32_e32 v15, 0.5, v7
	v_sub_f32_e32 v9, v34, v36
	v_mov_b32_e32 v11, v25
	v_add_f32_e32 v12, v4, v0
	v_sub_f32_e32 v0, v4, v0
	v_mul_f32_e32 v3, -0.5, v8
	v_mul_f32_e32 v16, 0.5, v17
	v_add_f32_e32 v6, v5, v2
	v_sub_f32_e32 v8, v5, v2
	v_add_f32_e32 v4, v10, v15
	v_sub_f32_e32 v2, v10, v15
	v_mov_b32_e32 v10, 3
	v_fmac_f32_e32 v25, 0xbf5db3d7, v9
	v_fmac_f32_e32 v11, 0x3f5db3d7, v9
	;; [unrolled: 1-line block ×4, first 2 shown]
	v_lshlrev_b32_sdwa v10, v10, v32 dst_sel:DWORD dst_unused:UNUSED_PAD src0_sel:DWORD src1_sel:BYTE_0
	v_add_f32_e32 v7, v25, v3
	v_sub_f32_e32 v9, v25, v3
	v_add_f32_e32 v5, v11, v16
	v_sub_f32_e32 v3, v11, v16
	v_add3_u32 v10, v19, v10, v31
	ds_write2_b64 v10, v[12:13], v[4:5] offset1:11
	ds_write2_b64 v10, v[6:7], v[0:1] offset0:22 offset1:33
	ds_write2_b64 v10, v[2:3], v[8:9] offset0:44 offset1:55
	s_waitcnt lgkmcnt(0)
	s_barrier
	s_and_saveexec_b64 s[4:5], s[0:1]
	s_cbranch_execz .LBB0_14
; %bb.13:
	ds_read_b64 v[12:13], v29
	v_add_u32_e32 v0, 0x800, v30
	ds_read2_b64 v[8:11], v0 offset0:74 offset1:140
	ds_read2_b64 v[4:7], v30 offset0:66 offset1:132
	;; [unrolled: 1-line block ×3, first 2 shown]
	s_waitcnt lgkmcnt(2)
	v_mov_b32_e32 v23, v11
	v_mov_b32_e32 v22, v10
.LBB0_14:
	s_or_b64 exec, exec, s[4:5]
	s_waitcnt lgkmcnt(0)
	s_barrier
	s_and_saveexec_b64 s[4:5], s[0:1]
	s_cbranch_execz .LBB0_16
; %bb.15:
	v_add_u32_e32 v10, 0xffffffbe, v28
	v_cndmask_b32_e64 v10, v10, v28, s[0:1]
	v_mul_i32_i24_e32 v10, 6, v10
	v_mov_b32_e32 v11, 0
	v_lshlrev_b64 v[10:11], 3, v[10:11]
	v_mov_b32_e32 v14, s9
	v_add_co_u32_e64 v10, s[0:1], s8, v10
	v_addc_co_u32_e64 v11, s[0:1], v14, v11, s[0:1]
	global_load_dwordx4 v[14:17], v[10:11], off offset:440
	global_load_dwordx4 v[24:27], v[10:11], off offset:472
	;; [unrolled: 1-line block ×3, first 2 shown]
	s_mov_b32 s6, 0xbf3bfb3b
	s_mov_b32 s0, 0xbf5ff5aa
	;; [unrolled: 1-line block ×3, first 2 shown]
	s_waitcnt vmcnt(2)
	v_mul_f32_e32 v10, v5, v15
	s_waitcnt vmcnt(1)
	v_mul_f32_e32 v11, v23, v27
	s_waitcnt vmcnt(0)
	v_mul_f32_e32 v18, v3, v34
	v_mul_f32_e32 v19, v1, v32
	v_mul_f32_e32 v35, v7, v17
	;; [unrolled: 1-line block ×9, first 2 shown]
	v_fmac_f32_e32 v10, v4, v14
	v_fmac_f32_e32 v11, v22, v26
	v_fmac_f32_e32 v18, v2, v33
	v_fmac_f32_e32 v19, v0, v31
	v_fmac_f32_e32 v35, v6, v16
	v_fmac_f32_e32 v36, v8, v24
	v_fma_f32 v0, v23, v26, -v27
	v_fma_f32 v2, v5, v14, -v15
	;; [unrolled: 1-line block ×6, first 2 shown]
	v_sub_f32_e32 v6, v10, v11
	v_sub_f32_e32 v7, v18, v19
	;; [unrolled: 1-line block ×3, first 2 shown]
	v_add_f32_e32 v9, v2, v0
	v_add_f32_e32 v15, v5, v4
	;; [unrolled: 1-line block ×6, first 2 shown]
	v_sub_f32_e32 v17, v2, v0
	v_sub_f32_e32 v0, v3, v1
	;; [unrolled: 1-line block ×3, first 2 shown]
	v_add_f32_e32 v3, v7, v8
	v_add_f32_e32 v18, v15, v9
	v_sub_f32_e32 v19, v10, v11
	v_add_f32_e32 v23, v16, v10
	v_sub_f32_e32 v2, v6, v7
	v_sub_f32_e32 v1, v7, v8
	;; [unrolled: 1-line block ×7, first 2 shown]
	v_add_f32_e32 v0, v0, v4
	v_sub_f32_e32 v8, v8, v6
	v_add_f32_e32 v6, v3, v6
	v_add_f32_e32 v3, v14, v18
	v_mul_f32_e32 v14, 0x3f4a47b2, v19
	v_add_f32_e32 v11, v11, v23
	v_mul_f32_e32 v26, 0x3f08b237, v1
	v_add_f32_e32 v23, v0, v17
	v_add_f32_e32 v1, v13, v3
	v_mov_b32_e32 v13, v14
	v_add_f32_e32 v0, v12, v11
	v_mul_f32_e32 v18, 0x3d64c772, v22
	v_fmac_f32_e32 v13, 0x3d64c772, v22
	v_mov_b32_e32 v22, v0
	v_fmac_f32_e32 v22, 0xbf955555, v11
	v_sub_f32_e32 v10, v16, v10
	v_mul_f32_e32 v5, 0x3f4a47b2, v5
	v_add_f32_e32 v33, v13, v22
	v_fma_f32 v13, v10, s6, -v14
	v_sub_f32_e32 v14, v4, v17
	v_mul_f32_e32 v19, 0x3f08b237, v25
	v_mul_f32_e32 v25, 0xbf5ff5aa, v8
	v_mov_b32_e32 v31, v26
	v_mov_b32_e32 v32, v5
	v_mul_f32_e32 v4, 0xbf5ff5aa, v14
	v_mul_f32_e32 v27, 0x3d64c772, v7
	v_mov_b32_e32 v12, v19
	v_fma_f32 v25, v2, s1, -v25
	v_fmac_f32_e32 v31, 0xbeae86e6, v2
	v_fmac_f32_e32 v32, 0x3d64c772, v7
	v_mov_b32_e32 v7, v1
	v_sub_f32_e32 v9, v15, v9
	v_fma_f32 v15, v24, s1, -v4
	s_mov_b32 s1, 0x3f3bfb3b
	v_fma_f32 v8, v8, s0, -v26
	v_fmac_f32_e32 v12, 0xbeae86e6, v24
	v_fmac_f32_e32 v31, 0xbee1c552, v6
	v_fmac_f32_e32 v7, 0xbf955555, v3
	v_fmac_f32_e32 v25, 0xbee1c552, v6
	v_fma_f32 v5, v9, s6, -v5
	v_fma_f32 v9, v9, s1, -v27
	v_fmac_f32_e32 v8, 0xbee1c552, v6
	v_fma_f32 v14, v14, s0, -v19
	v_fma_f32 v6, v10, s1, -v18
	v_fmac_f32_e32 v12, 0xbee1c552, v23
	v_add_f32_e32 v32, v32, v7
	v_add_f32_e32 v11, v5, v7
	;; [unrolled: 1-line block ×3, first 2 shown]
	v_fmac_f32_e32 v15, 0xbee1c552, v23
	v_add_f32_e32 v9, v9, v7
	v_fmac_f32_e32 v14, 0xbee1c552, v23
	v_add_f32_e32 v10, v6, v22
	v_sub_f32_e32 v2, v33, v12
	v_add_f32_e32 v5, v25, v11
	v_sub_f32_e32 v4, v13, v15
	v_sub_f32_e32 v7, v9, v8
	v_add_f32_e32 v6, v14, v10
	v_add_f32_e32 v9, v8, v9
	v_sub_f32_e32 v8, v10, v14
	v_sub_f32_e32 v11, v11, v25
	v_add_f32_e32 v10, v15, v13
	v_sub_f32_e32 v13, v32, v31
	v_add_f32_e32 v12, v12, v33
	ds_write_b64 v29, v[0:1]
	ds_write2_b64 v30, v[12:13], v[10:11] offset0:66 offset1:132
	v_add_u32_e32 v0, 0x400, v30
	v_add_f32_e32 v3, v31, v32
	ds_write2_b64 v0, v[8:9], v[6:7] offset0:70 offset1:136
	v_add_u32_e32 v0, 0x800, v30
	ds_write2_b64 v0, v[4:5], v[2:3] offset0:74 offset1:140
.LBB0_16:
	s_or_b64 exec, exec, s[4:5]
	s_waitcnt lgkmcnt(0)
	s_barrier
	s_and_saveexec_b64 s[0:1], vcc
	s_cbranch_execz .LBB0_18
; %bb.17:
	v_mad_u64_u32 v[4:5], s[0:1], s2, v28, 0
	v_add_co_u32_e32 v10, vcc, s12, v20
	v_mov_b32_e32 v0, v5
	v_mad_u64_u32 v[5:6], s[0:1], s3, v28, v[0:1]
	v_mov_b32_e32 v6, s13
	v_add_u32_e32 v8, 0x4d, v28
	v_addc_co_u32_e32 v11, vcc, v6, v21, vcc
	v_mad_u64_u32 v[6:7], s[0:1], s2, v8, 0
	ds_read2_b64 v[0:3], v29 offset1:77
	v_add_u32_e32 v12, 0x9a, v28
	v_mad_u64_u32 v[7:8], s[0:1], s3, v8, v[7:8]
	v_lshlrev_b64 v[4:5], 3, v[4:5]
	v_mad_u64_u32 v[8:9], s[0:1], s2, v12, 0
	v_add_co_u32_e32 v4, vcc, v10, v4
	v_addc_co_u32_e32 v5, vcc, v11, v5, vcc
	s_waitcnt lgkmcnt(0)
	global_store_dwordx2 v[4:5], v[0:1], off
	v_mov_b32_e32 v4, v9
	v_mad_u64_u32 v[4:5], s[0:1], s3, v12, v[4:5]
	v_lshlrev_b64 v[0:1], 3, v[6:7]
	v_add_u32_e32 v12, 0x134, v28
	v_mov_b32_e32 v9, v4
	v_lshlrev_b64 v[4:5], 3, v[8:9]
	v_add_u32_e32 v8, 0xe7, v28
	v_mad_u64_u32 v[6:7], s[0:1], s2, v8, 0
	v_add_co_u32_e32 v0, vcc, v10, v0
	v_addc_co_u32_e32 v1, vcc, v11, v1, vcc
	global_store_dwordx2 v[0:1], v[2:3], off
	ds_read2_b64 v[0:3], v29 offset0:154 offset1:231
	v_mad_u64_u32 v[7:8], s[0:1], s3, v8, v[7:8]
	v_mad_u64_u32 v[8:9], s[0:1], s2, v12, 0
	v_add_co_u32_e32 v4, vcc, v10, v4
	v_addc_co_u32_e32 v5, vcc, v11, v5, vcc
	s_waitcnt lgkmcnt(0)
	global_store_dwordx2 v[4:5], v[0:1], off
	v_mov_b32_e32 v4, v9
	v_mad_u64_u32 v[4:5], s[0:1], s3, v12, v[4:5]
	v_lshlrev_b64 v[0:1], 3, v[6:7]
	v_add_u32_e32 v12, 0x181, v28
	v_add_co_u32_e32 v0, vcc, v10, v0
	v_mov_b32_e32 v9, v4
	v_mad_u64_u32 v[4:5], s[0:1], s2, v12, 0
	v_addc_co_u32_e32 v1, vcc, v11, v1, vcc
	global_store_dwordx2 v[0:1], v[2:3], off
	v_add_u32_e32 v0, 0x800, v29
	v_lshlrev_b64 v[6:7], 3, v[8:9]
	ds_read2_b64 v[0:3], v0 offset0:52 offset1:129
	v_mad_u64_u32 v[8:9], s[0:1], s3, v12, v[5:6]
	v_add_co_u32_e32 v5, vcc, v10, v6
	v_addc_co_u32_e32 v6, vcc, v11, v7, vcc
	s_waitcnt lgkmcnt(0)
	global_store_dwordx2 v[5:6], v[0:1], off
	v_mov_b32_e32 v5, v8
	v_lshlrev_b64 v[0:1], 3, v[4:5]
	v_add_co_u32_e32 v0, vcc, v10, v0
	v_addc_co_u32_e32 v1, vcc, v11, v1, vcc
	global_store_dwordx2 v[0:1], v[2:3], off
.LBB0_18:
	s_endpgm
	.section	.rodata,"a",@progbits
	.p2align	6, 0x0
	.amdhsa_kernel fft_rtc_back_len462_factors_11_6_7_wgs_231_tpt_77_sp_ip_CI_sbrr_dirReg
		.amdhsa_group_segment_fixed_size 0
		.amdhsa_private_segment_fixed_size 0
		.amdhsa_kernarg_size 88
		.amdhsa_user_sgpr_count 6
		.amdhsa_user_sgpr_private_segment_buffer 1
		.amdhsa_user_sgpr_dispatch_ptr 0
		.amdhsa_user_sgpr_queue_ptr 0
		.amdhsa_user_sgpr_kernarg_segment_ptr 1
		.amdhsa_user_sgpr_dispatch_id 0
		.amdhsa_user_sgpr_flat_scratch_init 0
		.amdhsa_user_sgpr_private_segment_size 0
		.amdhsa_uses_dynamic_stack 0
		.amdhsa_system_sgpr_private_segment_wavefront_offset 0
		.amdhsa_system_sgpr_workgroup_id_x 1
		.amdhsa_system_sgpr_workgroup_id_y 0
		.amdhsa_system_sgpr_workgroup_id_z 0
		.amdhsa_system_sgpr_workgroup_info 0
		.amdhsa_system_vgpr_workitem_id 0
		.amdhsa_next_free_vgpr 74
		.amdhsa_next_free_sgpr 24
		.amdhsa_reserve_vcc 1
		.amdhsa_reserve_flat_scratch 0
		.amdhsa_float_round_mode_32 0
		.amdhsa_float_round_mode_16_64 0
		.amdhsa_float_denorm_mode_32 3
		.amdhsa_float_denorm_mode_16_64 3
		.amdhsa_dx10_clamp 1
		.amdhsa_ieee_mode 1
		.amdhsa_fp16_overflow 0
		.amdhsa_exception_fp_ieee_invalid_op 0
		.amdhsa_exception_fp_denorm_src 0
		.amdhsa_exception_fp_ieee_div_zero 0
		.amdhsa_exception_fp_ieee_overflow 0
		.amdhsa_exception_fp_ieee_underflow 0
		.amdhsa_exception_fp_ieee_inexact 0
		.amdhsa_exception_int_div_zero 0
	.end_amdhsa_kernel
	.text
.Lfunc_end0:
	.size	fft_rtc_back_len462_factors_11_6_7_wgs_231_tpt_77_sp_ip_CI_sbrr_dirReg, .Lfunc_end0-fft_rtc_back_len462_factors_11_6_7_wgs_231_tpt_77_sp_ip_CI_sbrr_dirReg
                                        ; -- End function
	.section	.AMDGPU.csdata,"",@progbits
; Kernel info:
; codeLenInByte = 5616
; NumSgprs: 28
; NumVgprs: 74
; ScratchSize: 0
; MemoryBound: 0
; FloatMode: 240
; IeeeMode: 1
; LDSByteSize: 0 bytes/workgroup (compile time only)
; SGPRBlocks: 3
; VGPRBlocks: 18
; NumSGPRsForWavesPerEU: 28
; NumVGPRsForWavesPerEU: 74
; Occupancy: 3
; WaveLimiterHint : 1
; COMPUTE_PGM_RSRC2:SCRATCH_EN: 0
; COMPUTE_PGM_RSRC2:USER_SGPR: 6
; COMPUTE_PGM_RSRC2:TRAP_HANDLER: 0
; COMPUTE_PGM_RSRC2:TGID_X_EN: 1
; COMPUTE_PGM_RSRC2:TGID_Y_EN: 0
; COMPUTE_PGM_RSRC2:TGID_Z_EN: 0
; COMPUTE_PGM_RSRC2:TIDIG_COMP_CNT: 0
	.type	__hip_cuid_f975bb80022df6ea,@object ; @__hip_cuid_f975bb80022df6ea
	.section	.bss,"aw",@nobits
	.globl	__hip_cuid_f975bb80022df6ea
__hip_cuid_f975bb80022df6ea:
	.byte	0                               ; 0x0
	.size	__hip_cuid_f975bb80022df6ea, 1

	.ident	"AMD clang version 19.0.0git (https://github.com/RadeonOpenCompute/llvm-project roc-6.4.0 25133 c7fe45cf4b819c5991fe208aaa96edf142730f1d)"
	.section	".note.GNU-stack","",@progbits
	.addrsig
	.addrsig_sym __hip_cuid_f975bb80022df6ea
	.amdgpu_metadata
---
amdhsa.kernels:
  - .args:
      - .actual_access:  read_only
        .address_space:  global
        .offset:         0
        .size:           8
        .value_kind:     global_buffer
      - .offset:         8
        .size:           8
        .value_kind:     by_value
      - .actual_access:  read_only
        .address_space:  global
        .offset:         16
        .size:           8
        .value_kind:     global_buffer
      - .actual_access:  read_only
        .address_space:  global
        .offset:         24
        .size:           8
        .value_kind:     global_buffer
      - .offset:         32
        .size:           8
        .value_kind:     by_value
      - .actual_access:  read_only
        .address_space:  global
        .offset:         40
        .size:           8
        .value_kind:     global_buffer
      - .actual_access:  read_only
        .address_space:  global
        .offset:         48
        .size:           8
        .value_kind:     global_buffer
      - .offset:         56
        .size:           4
        .value_kind:     by_value
      - .actual_access:  read_only
        .address_space:  global
        .offset:         64
        .size:           8
        .value_kind:     global_buffer
      - .actual_access:  read_only
        .address_space:  global
        .offset:         72
        .size:           8
        .value_kind:     global_buffer
      - .address_space:  global
        .offset:         80
        .size:           8
        .value_kind:     global_buffer
    .group_segment_fixed_size: 0
    .kernarg_segment_align: 8
    .kernarg_segment_size: 88
    .language:       OpenCL C
    .language_version:
      - 2
      - 0
    .max_flat_workgroup_size: 231
    .name:           fft_rtc_back_len462_factors_11_6_7_wgs_231_tpt_77_sp_ip_CI_sbrr_dirReg
    .private_segment_fixed_size: 0
    .sgpr_count:     28
    .sgpr_spill_count: 0
    .symbol:         fft_rtc_back_len462_factors_11_6_7_wgs_231_tpt_77_sp_ip_CI_sbrr_dirReg.kd
    .uniform_work_group_size: 1
    .uses_dynamic_stack: false
    .vgpr_count:     74
    .vgpr_spill_count: 0
    .wavefront_size: 64
amdhsa.target:   amdgcn-amd-amdhsa--gfx906
amdhsa.version:
  - 1
  - 2
...

	.end_amdgpu_metadata
